;; amdgpu-corpus repo=ROCm/rocFFT kind=compiled arch=gfx950 opt=O3
	.text
	.amdgcn_target "amdgcn-amd-amdhsa--gfx950"
	.amdhsa_code_object_version 6
	.protected	fft_rtc_back_len234_factors_13_9_2_wgs_52_tpt_26_dp_op_CI_CI_unitstride_sbrr_C2R_dirReg ; -- Begin function fft_rtc_back_len234_factors_13_9_2_wgs_52_tpt_26_dp_op_CI_CI_unitstride_sbrr_C2R_dirReg
	.globl	fft_rtc_back_len234_factors_13_9_2_wgs_52_tpt_26_dp_op_CI_CI_unitstride_sbrr_C2R_dirReg
	.p2align	8
	.type	fft_rtc_back_len234_factors_13_9_2_wgs_52_tpt_26_dp_op_CI_CI_unitstride_sbrr_C2R_dirReg,@function
fft_rtc_back_len234_factors_13_9_2_wgs_52_tpt_26_dp_op_CI_CI_unitstride_sbrr_C2R_dirReg: ; @fft_rtc_back_len234_factors_13_9_2_wgs_52_tpt_26_dp_op_CI_CI_unitstride_sbrr_C2R_dirReg
; %bb.0:
	s_load_dwordx4 s[4:7], s[0:1], 0x58
	s_load_dwordx4 s[8:11], s[0:1], 0x0
	;; [unrolled: 1-line block ×3, first 2 shown]
	v_mul_u32_u24_e32 v1, 0x9d9, v0
	v_lshrrev_b32_e32 v1, 16, v1
	v_lshl_add_u32 v6, s2, 1, v1
	v_mov_b32_e32 v4, 0
	s_waitcnt lgkmcnt(0)
	v_cmp_lt_u64_e64 s[2:3], s[10:11], 2
	v_mov_b32_e32 v7, v4
	s_and_b64 vcc, exec, s[2:3]
	v_mov_b64_e32 v[2:3], 0
	s_cbranch_vccnz .LBB0_8
; %bb.1:
	s_load_dwordx2 s[2:3], s[0:1], 0x10
	s_add_u32 s16, s14, 8
	s_addc_u32 s17, s15, 0
	s_add_u32 s18, s12, 8
	s_addc_u32 s19, s13, 0
	s_waitcnt lgkmcnt(0)
	s_add_u32 s20, s2, 8
	v_mov_b64_e32 v[2:3], 0
	s_addc_u32 s21, s3, 0
	s_mov_b64 s[22:23], 1
	v_mov_b64_e32 v[80:81], v[2:3]
.LBB0_2:                                ; =>This Inner Loop Header: Depth=1
	s_load_dwordx2 s[24:25], s[20:21], 0x0
                                        ; implicit-def: $vgpr82_vgpr83
	s_waitcnt lgkmcnt(0)
	v_or_b32_e32 v5, s25, v7
	v_cmp_ne_u64_e32 vcc, 0, v[4:5]
	s_and_saveexec_b64 s[2:3], vcc
	s_xor_b64 s[26:27], exec, s[2:3]
	s_cbranch_execz .LBB0_4
; %bb.3:                                ;   in Loop: Header=BB0_2 Depth=1
	v_cvt_f32_u32_e32 v5, s24
	v_cvt_f32_u32_e32 v8, s25
	s_sub_u32 s2, 0, s24
	s_subb_u32 s3, 0, s25
	v_fmac_f32_e32 v5, 0x4f800000, v8
	v_rcp_f32_e32 v5, v5
	s_nop 0
	v_mul_f32_e32 v5, 0x5f7ffffc, v5
	v_mul_f32_e32 v8, 0x2f800000, v5
	v_trunc_f32_e32 v8, v8
	v_fmac_f32_e32 v5, 0xcf800000, v8
	v_cvt_u32_f32_e32 v12, v8
	v_cvt_u32_f32_e32 v5, v5
	v_mul_lo_u32 v8, s2, v12
	v_mul_hi_u32 v10, s2, v5
	v_mul_lo_u32 v9, s3, v5
	v_add_u32_e32 v10, v10, v8
	v_mul_lo_u32 v13, s2, v5
	v_add_u32_e32 v14, v10, v9
	v_mul_hi_u32 v8, v5, v13
	v_mul_hi_u32 v11, v5, v14
	v_mul_lo_u32 v10, v5, v14
	v_mov_b32_e32 v9, v4
	v_lshl_add_u64 v[8:9], v[8:9], 0, v[10:11]
	v_mul_hi_u32 v11, v12, v13
	v_mul_lo_u32 v13, v12, v13
	v_add_co_u32_e32 v8, vcc, v8, v13
	v_mul_hi_u32 v10, v12, v14
	s_nop 0
	v_addc_co_u32_e32 v8, vcc, v9, v11, vcc
	v_mov_b32_e32 v9, v4
	s_nop 0
	v_addc_co_u32_e32 v11, vcc, 0, v10, vcc
	v_mul_lo_u32 v10, v12, v14
	v_lshl_add_u64 v[8:9], v[8:9], 0, v[10:11]
	v_add_co_u32_e32 v5, vcc, v5, v8
	v_mul_lo_u32 v10, s2, v5
	s_nop 0
	v_addc_co_u32_e32 v12, vcc, v12, v9, vcc
	v_mul_lo_u32 v8, s2, v12
	v_mul_hi_u32 v9, s2, v5
	v_add_u32_e32 v8, v9, v8
	v_mul_lo_u32 v9, s3, v5
	v_add_u32_e32 v13, v8, v9
	v_mul_hi_u32 v15, v12, v10
	v_mul_lo_u32 v16, v12, v10
	v_mul_hi_u32 v9, v5, v13
	v_mul_lo_u32 v8, v5, v13
	v_mul_hi_u32 v10, v5, v10
	v_mov_b32_e32 v11, v4
	v_lshl_add_u64 v[8:9], v[10:11], 0, v[8:9]
	v_add_co_u32_e32 v8, vcc, v8, v16
	v_mul_hi_u32 v14, v12, v13
	s_nop 0
	v_addc_co_u32_e32 v8, vcc, v9, v15, vcc
	v_mul_lo_u32 v10, v12, v13
	s_nop 0
	v_addc_co_u32_e32 v11, vcc, 0, v14, vcc
	v_mov_b32_e32 v9, v4
	v_lshl_add_u64 v[8:9], v[8:9], 0, v[10:11]
	v_add_co_u32_e32 v5, vcc, v5, v8
	v_mul_hi_u32 v10, v6, v5
	s_nop 0
	v_addc_co_u32_e32 v12, vcc, v12, v9, vcc
	v_mad_u64_u32 v[8:9], s[2:3], v6, v12, 0
	v_mov_b32_e32 v11, v4
	v_lshl_add_u64 v[8:9], v[10:11], 0, v[8:9]
	v_mad_u64_u32 v[10:11], s[2:3], v7, v12, 0
	v_mad_u64_u32 v[12:13], s[2:3], v7, v5, 0
	v_add_co_u32_e32 v5, vcc, v8, v12
	s_nop 1
	v_addc_co_u32_e32 v8, vcc, v9, v13, vcc
	v_mov_b32_e32 v9, v4
	s_nop 0
	v_addc_co_u32_e32 v11, vcc, 0, v11, vcc
	v_lshl_add_u64 v[8:9], v[8:9], 0, v[10:11]
	v_mul_lo_u32 v5, s25, v8
	v_mul_lo_u32 v12, s24, v9
	v_mad_u64_u32 v[10:11], s[2:3], s24, v8, 0
	v_add3_u32 v5, v11, v12, v5
	v_sub_u32_e32 v11, v7, v5
	v_mov_b32_e32 v12, s25
	v_sub_co_u32_e32 v14, vcc, v6, v10
	s_nop 1
	v_subb_co_u32_e64 v10, s[2:3], v11, v12, vcc
	v_subrev_co_u32_e64 v11, s[2:3], s24, v14
	v_subb_co_u32_e32 v5, vcc, v7, v5, vcc
	s_nop 0
	v_subbrev_co_u32_e64 v10, s[2:3], 0, v10, s[2:3]
	v_cmp_le_u32_e64 s[2:3], s25, v10
	v_cmp_le_u32_e32 vcc, s25, v5
	s_nop 0
	v_cndmask_b32_e64 v12, 0, -1, s[2:3]
	v_cmp_le_u32_e64 s[2:3], s24, v11
	s_nop 1
	v_cndmask_b32_e64 v11, 0, -1, s[2:3]
	v_cmp_eq_u32_e64 s[2:3], s25, v10
	s_nop 1
	v_cndmask_b32_e64 v15, v12, v11, s[2:3]
	v_lshl_add_u64 v[10:11], v[8:9], 0, 2
	v_lshl_add_u64 v[12:13], v[8:9], 0, 1
	v_cmp_ne_u32_e64 s[2:3], 0, v15
	s_nop 1
	v_cndmask_b32_e64 v11, v13, v11, s[2:3]
	v_cndmask_b32_e64 v13, 0, -1, vcc
	v_cmp_le_u32_e32 vcc, s24, v14
	s_nop 1
	v_cndmask_b32_e64 v14, 0, -1, vcc
	v_cmp_eq_u32_e32 vcc, s25, v5
	s_nop 1
	v_cndmask_b32_e32 v5, v13, v14, vcc
	v_cmp_ne_u32_e32 vcc, 0, v5
	v_cndmask_b32_e64 v5, v12, v10, s[2:3]
	s_nop 0
	v_cndmask_b32_e32 v83, v9, v11, vcc
	v_cndmask_b32_e32 v82, v8, v5, vcc
.LBB0_4:                                ;   in Loop: Header=BB0_2 Depth=1
	s_andn2_saveexec_b64 s[2:3], s[26:27]
	s_cbranch_execz .LBB0_6
; %bb.5:                                ;   in Loop: Header=BB0_2 Depth=1
	v_cvt_f32_u32_e32 v5, s24
	s_sub_i32 s26, 0, s24
	v_mov_b32_e32 v83, v4
	v_rcp_iflag_f32_e32 v5, v5
	s_nop 0
	v_mul_f32_e32 v5, 0x4f7ffffe, v5
	v_cvt_u32_f32_e32 v5, v5
	v_mul_lo_u32 v8, s26, v5
	v_mul_hi_u32 v8, v5, v8
	v_add_u32_e32 v5, v5, v8
	v_mul_hi_u32 v5, v6, v5
	v_mul_lo_u32 v8, v5, s24
	v_sub_u32_e32 v8, v6, v8
	v_add_u32_e32 v9, 1, v5
	v_subrev_u32_e32 v10, s24, v8
	v_cmp_le_u32_e32 vcc, s24, v8
	s_nop 1
	v_cndmask_b32_e32 v8, v8, v10, vcc
	v_cndmask_b32_e32 v5, v5, v9, vcc
	v_add_u32_e32 v9, 1, v5
	v_cmp_le_u32_e32 vcc, s24, v8
	s_nop 1
	v_cndmask_b32_e32 v82, v5, v9, vcc
.LBB0_6:                                ;   in Loop: Header=BB0_2 Depth=1
	s_or_b64 exec, exec, s[2:3]
	v_mad_u64_u32 v[8:9], s[2:3], v82, s24, 0
	s_load_dwordx2 s[2:3], s[18:19], 0x0
	v_mul_lo_u32 v5, v83, s24
	v_mul_lo_u32 v10, v82, s25
	s_load_dwordx2 s[24:25], s[16:17], 0x0
	s_add_u32 s22, s22, 1
	v_add3_u32 v5, v9, v10, v5
	v_sub_co_u32_e32 v6, vcc, v6, v8
	s_addc_u32 s23, s23, 0
	s_nop 0
	v_subb_co_u32_e32 v5, vcc, v7, v5, vcc
	s_add_u32 s16, s16, 8
	s_waitcnt lgkmcnt(0)
	v_mul_lo_u32 v7, s2, v5
	v_mul_lo_u32 v8, s3, v6
	v_mad_u64_u32 v[2:3], s[2:3], s2, v6, v[2:3]
	s_addc_u32 s17, s17, 0
	v_add3_u32 v3, v8, v3, v7
	v_mul_lo_u32 v5, s24, v5
	v_mul_lo_u32 v7, s25, v6
	v_mad_u64_u32 v[80:81], s[2:3], s24, v6, v[80:81]
	s_add_u32 s18, s18, 8
	v_add3_u32 v81, v7, v81, v5
	s_addc_u32 s19, s19, 0
	v_mov_b64_e32 v[6:7], s[10:11]
	s_add_u32 s20, s20, 8
	v_cmp_ge_u64_e32 vcc, s[22:23], v[6:7]
	s_addc_u32 s21, s21, 0
	s_cbranch_vccnz .LBB0_9
; %bb.7:                                ;   in Loop: Header=BB0_2 Depth=1
	v_mov_b64_e32 v[6:7], v[82:83]
	s_branch .LBB0_2
.LBB0_8:
	v_mov_b64_e32 v[80:81], v[2:3]
	v_mov_b64_e32 v[82:83], v[6:7]
.LBB0_9:
	s_load_dwordx2 s[2:3], s[0:1], 0x28
	s_lshl_b64 s[16:17], s[10:11], 3
	s_add_u32 s10, s14, s16
	v_and_b32_e32 v1, 1, v1
	s_addc_u32 s11, s15, s17
	v_cmp_eq_u32_e64 s[0:1], 1, v1
	v_mov_b32_e32 v1, 0xeb
	s_waitcnt lgkmcnt(0)
	v_cmp_gt_u64_e32 vcc, s[2:3], v[82:83]
	v_cmp_le_u64_e64 s[2:3], s[2:3], v[82:83]
                                        ; implicit-def: $vgpr84
                                        ; implicit-def: $vgpr4_vgpr5
	s_and_saveexec_b64 s[14:15], s[2:3]
	s_xor_b64 s[2:3], exec, s[14:15]
; %bb.10:
	s_mov_b32 s14, 0x9d89d8a
	v_mul_hi_u32 v2, v0, s14
	v_mul_u32_u24_e32 v2, 26, v2
	v_sub_u32_e32 v84, v0, v2
	v_mov_b32_e32 v85, 0
	v_mov_b64_e32 v[4:5], v[84:85]
                                        ; implicit-def: $vgpr0
                                        ; implicit-def: $vgpr2_vgpr3
; %bb.11:
	s_or_saveexec_b64 s[2:3], s[2:3]
	s_load_dwordx2 s[10:11], s[10:11], 0x0
	v_cndmask_b32_e64 v10, 0, v1, s[0:1]
	v_lshlrev_b32_e32 v153, 4, v10
	s_xor_b64 exec, exec, s[2:3]
	s_cbranch_execz .LBB0_15
; %bb.12:
	s_add_u32 s0, s12, s16
	s_addc_u32 s1, s13, s17
	s_load_dwordx2 s[0:1], s[0:1], 0x0
	s_mov_b32 s12, 0x9d89d8a
	v_mov_b32_e32 v85, 0
	s_waitcnt lgkmcnt(0)
	v_mul_lo_u32 v1, s1, v82
	v_mul_lo_u32 v6, s0, v83
	v_mad_u64_u32 v[4:5], s[0:1], s0, v82, 0
	v_add3_u32 v5, v5, v6, v1
	v_mul_hi_u32 v1, v0, s12
	v_mul_u32_u24_e32 v1, 26, v1
	v_sub_u32_e32 v84, v0, v1
	v_lshl_add_u64 v[0:1], v[4:5], 4, s[4:5]
	v_lshl_add_u64 v[0:1], v[2:3], 4, v[0:1]
	v_lshlrev_b32_e32 v2, 4, v84
	v_mov_b32_e32 v3, v85
	v_lshl_add_u64 v[8:9], v[0:1], 0, v[2:3]
	global_load_dwordx4 v[4:7], v[8:9], off
	global_load_dwordx4 v[12:15], v[8:9], off offset:416
	global_load_dwordx4 v[16:19], v[8:9], off offset:832
	;; [unrolled: 1-line block ×8, first 2 shown]
	v_add3_u32 v2, 0, v153, v2
	v_cmp_eq_u32_e64 s[0:1], 25, v84
	s_waitcnt vmcnt(8)
	ds_write_b128 v2, v[4:7]
	s_waitcnt vmcnt(7)
	ds_write_b128 v2, v[12:15] offset:416
	s_waitcnt vmcnt(6)
	ds_write_b128 v2, v[16:19] offset:832
	;; [unrolled: 2-line block ×8, first 2 shown]
	v_mov_b64_e32 v[4:5], v[84:85]
	s_and_saveexec_b64 s[4:5], s[0:1]
	s_cbranch_execz .LBB0_14
; %bb.13:
	global_load_dwordx4 v[4:7], v[0:1], off offset:3744
	v_mov_b32_e32 v84, 25
	s_waitcnt vmcnt(0)
	ds_write_b128 v2, v[4:7] offset:3344
	v_mov_b64_e32 v[4:5], 25
.LBB0_14:
	s_or_b64 exec, exec, s[4:5]
.LBB0_15:
	s_or_b64 exec, exec, s[2:3]
	v_lshl_add_u32 v152, v10, 4, 0
	v_lshlrev_b32_e32 v0, 4, v84
	v_add_u32_e32 v154, v152, v0
	s_waitcnt lgkmcnt(0)
	; wave barrier
	s_waitcnt lgkmcnt(0)
	v_sub_u32_e32 v11, v152, v0
	ds_read_b64 v[6:7], v154
	ds_read_b64 v[8:9], v11 offset:3744
	v_cmp_ne_u32_e64 s[0:1], 0, v84
	v_lshl_add_u64 v[86:87], v[4:5], 4, s[8:9]
	s_waitcnt lgkmcnt(0)
	v_add_f64 v[0:1], v[6:7], v[8:9]
	v_add_f64 v[2:3], v[6:7], -v[8:9]
	s_and_saveexec_b64 s[2:3], s[0:1]
	s_xor_b64 s[0:1], exec, s[2:3]
	s_cbranch_execz .LBB0_17
; %bb.16:
	global_load_dwordx4 v[12:15], v[86:87], off offset:3536
	ds_read_b64 v[0:1], v11 offset:3752
	ds_read_b64 v[2:3], v154 offset:8
	v_add_f64 v[4:5], v[6:7], v[8:9]
	v_add_f64 v[8:9], v[6:7], -v[8:9]
	s_waitcnt lgkmcnt(0)
	v_add_f64 v[16:17], v[0:1], v[2:3]
	v_add_f64 v[0:1], v[2:3], -v[0:1]
	s_waitcnt vmcnt(0)
	v_fma_f64 v[18:19], v[8:9], v[14:15], v[4:5]
	v_fma_f64 v[4:5], -v[8:9], v[14:15], v[4:5]
	v_fma_f64 v[6:7], v[16:17], v[14:15], -v[0:1]
	v_fma_f64 v[2:3], v[16:17], v[14:15], v[0:1]
	v_fmac_f64_e32 v[4:5], v[16:17], v[12:13]
	v_fmac_f64_e32 v[6:7], v[8:9], v[12:13]
	v_fma_f64 v[0:1], -v[16:17], v[12:13], v[18:19]
	v_fmac_f64_e32 v[2:3], v[8:9], v[12:13]
	ds_write_b128 v11, v[4:7] offset:3744
.LBB0_17:
	s_andn2_saveexec_b64 s[0:1], s[0:1]
	s_cbranch_execz .LBB0_19
; %bb.18:
	ds_read_b128 v[4:7], v152 offset:1872
	s_waitcnt lgkmcnt(0)
	v_add_f64 v[4:5], v[4:5], v[4:5]
	v_mul_f64 v[6:7], v[6:7], -2.0
	ds_write_b128 v152, v[4:7] offset:1872
.LBB0_19:
	s_or_b64 exec, exec, s[0:1]
	s_add_u32 s0, s8, 0xdd0
	s_addc_u32 s1, s9, 0
	v_mov_b32_e32 v85, 0
	v_lshl_add_u64 v[4:5], v[84:85], 4, s[0:1]
	global_load_dwordx4 v[6:9], v[4:5], off offset:416
	global_load_dwordx4 v[12:15], v[4:5], off offset:832
	;; [unrolled: 1-line block ×3, first 2 shown]
	ds_write_b128 v154, v[0:3]
	ds_read_b128 v[0:3], v154 offset:416
	ds_read_b128 v[20:23], v11 offset:3328
	v_cmp_gt_u32_e64 s[0:1], 13, v84
	s_waitcnt lgkmcnt(0)
	v_add_f64 v[24:25], v[0:1], v[20:21]
	v_add_f64 v[26:27], v[22:23], v[2:3]
	v_add_f64 v[28:29], v[0:1], -v[20:21]
	v_add_f64 v[0:1], v[2:3], -v[22:23]
	s_waitcnt vmcnt(2)
	v_fma_f64 v[30:31], v[28:29], v[8:9], v[24:25]
	v_fma_f64 v[2:3], v[26:27], v[8:9], v[0:1]
	v_fma_f64 v[20:21], -v[28:29], v[8:9], v[24:25]
	v_fma_f64 v[22:23], v[26:27], v[8:9], -v[0:1]
	v_fma_f64 v[0:1], -v[26:27], v[6:7], v[30:31]
	v_fmac_f64_e32 v[2:3], v[28:29], v[6:7]
	v_fmac_f64_e32 v[20:21], v[26:27], v[6:7]
	;; [unrolled: 1-line block ×3, first 2 shown]
	ds_write_b128 v154, v[0:3] offset:416
	ds_write_b128 v11, v[20:23] offset:3328
	ds_read_b128 v[0:3], v154 offset:832
	ds_read_b128 v[6:9], v11 offset:2912
	s_waitcnt lgkmcnt(0)
	v_add_f64 v[20:21], v[0:1], v[6:7]
	v_add_f64 v[22:23], v[8:9], v[2:3]
	v_add_f64 v[24:25], v[0:1], -v[6:7]
	v_add_f64 v[0:1], v[2:3], -v[8:9]
	s_waitcnt vmcnt(1)
	v_fma_f64 v[26:27], v[24:25], v[14:15], v[20:21]
	v_fma_f64 v[2:3], v[22:23], v[14:15], v[0:1]
	v_fma_f64 v[6:7], -v[24:25], v[14:15], v[20:21]
	v_fma_f64 v[8:9], v[22:23], v[14:15], -v[0:1]
	v_fma_f64 v[0:1], -v[22:23], v[12:13], v[26:27]
	v_fmac_f64_e32 v[2:3], v[24:25], v[12:13]
	v_fmac_f64_e32 v[6:7], v[22:23], v[12:13]
	;; [unrolled: 1-line block ×3, first 2 shown]
	ds_write_b128 v154, v[0:3] offset:832
	ds_write_b128 v11, v[6:9] offset:2912
	ds_read_b128 v[0:3], v154 offset:1248
	ds_read_b128 v[6:9], v11 offset:2496
	s_waitcnt lgkmcnt(0)
	v_add_f64 v[12:13], v[0:1], v[6:7]
	v_add_f64 v[14:15], v[8:9], v[2:3]
	v_add_f64 v[20:21], v[0:1], -v[6:7]
	v_add_f64 v[0:1], v[2:3], -v[8:9]
	s_waitcnt vmcnt(0)
	v_fma_f64 v[22:23], v[20:21], v[18:19], v[12:13]
	v_fma_f64 v[2:3], v[14:15], v[18:19], v[0:1]
	v_fma_f64 v[6:7], -v[20:21], v[18:19], v[12:13]
	v_fma_f64 v[8:9], v[14:15], v[18:19], -v[0:1]
	v_fma_f64 v[0:1], -v[14:15], v[16:17], v[22:23]
	v_fmac_f64_e32 v[2:3], v[20:21], v[16:17]
	v_fmac_f64_e32 v[6:7], v[14:15], v[16:17]
	;; [unrolled: 1-line block ×3, first 2 shown]
	ds_write_b128 v154, v[0:3] offset:1248
	ds_write_b128 v11, v[6:9] offset:2496
	s_and_saveexec_b64 s[2:3], s[0:1]
	s_cbranch_execz .LBB0_21
; %bb.20:
	global_load_dwordx4 v[0:3], v[4:5], off offset:1664
	ds_read_b128 v[4:7], v154 offset:1664
	ds_read_b128 v[12:15], v11 offset:2080
	s_waitcnt lgkmcnt(0)
	v_add_f64 v[8:9], v[4:5], v[12:13]
	v_add_f64 v[16:17], v[14:15], v[6:7]
	v_add_f64 v[12:13], v[4:5], -v[12:13]
	v_add_f64 v[14:15], v[6:7], -v[14:15]
	s_waitcnt vmcnt(0)
	v_fma_f64 v[18:19], v[12:13], v[2:3], v[8:9]
	v_fma_f64 v[4:5], v[16:17], v[2:3], v[14:15]
	v_fma_f64 v[6:7], -v[12:13], v[2:3], v[8:9]
	v_fma_f64 v[8:9], v[16:17], v[2:3], -v[14:15]
	v_fma_f64 v[2:3], -v[16:17], v[0:1], v[18:19]
	v_fmac_f64_e32 v[4:5], v[12:13], v[0:1]
	v_fmac_f64_e32 v[6:7], v[16:17], v[0:1]
	;; [unrolled: 1-line block ×3, first 2 shown]
	ds_write_b128 v154, v[2:5] offset:1664
	ds_write_b128 v11, v[6:9] offset:2080
.LBB0_21:
	s_or_b64 exec, exec, s[2:3]
	v_lshl_add_u32 v156, v84, 4, 0
	v_lshl_add_u32 v155, v10, 4, v156
	s_waitcnt lgkmcnt(0)
	; wave barrier
	s_waitcnt lgkmcnt(0)
	s_waitcnt lgkmcnt(0)
	; wave barrier
	s_waitcnt lgkmcnt(0)
	ds_read_b128 v[4:7], v155 offset:3456
	ds_read_b128 v[8:11], v155 offset:288
	ds_read_b128 v[12:15], v154
	ds_read_b128 v[16:19], v155 offset:576
	ds_read_b128 v[20:23], v155 offset:864
	;; [unrolled: 1-line block ×4, first 2 shown]
	s_mov_b32 s12, 0x2ef20147
	s_waitcnt lgkmcnt(5)
	v_add_f64 v[92:93], v[10:11], -v[6:7]
	s_mov_b32 s4, 0xb2365da1
	s_mov_b32 s13, 0xbfedeba7
	;; [unrolled: 1-line block ×3, first 2 shown]
	v_add_f64 v[88:89], v[8:9], v[4:5]
	v_add_f64 v[90:91], v[10:11], v[6:7]
	s_mov_b32 s5, 0xbfd6b1d8
	v_mul_f64 v[72:73], v[92:93], s[12:13]
	s_waitcnt lgkmcnt(1)
	v_add_f64 v[102:103], v[18:19], -v[26:27]
	s_mov_b32 s14, 0xd0032e0c
	s_mov_b32 s31, 0x3fe5384d
	v_add_f64 v[96:97], v[8:9], -v[4:5]
	v_mul_f64 v[74:75], v[90:91], s[4:5]
	v_fma_f64 v[0:1], v[88:89], s[4:5], -v[72:73]
	v_add_f64 v[94:95], v[16:17], v[24:25]
	v_add_f64 v[100:101], v[18:19], v[26:27]
	s_mov_b32 s15, 0xbfe7f3cc
	v_mul_f64 v[76:77], v[102:103], s[30:31]
	v_add_f64 v[0:1], v[12:13], v[0:1]
	v_fma_f64 v[2:3], s[12:13], v[96:97], v[74:75]
	v_add_f64 v[108:109], v[16:17], -v[24:25]
	v_mul_f64 v[136:137], v[100:101], s[14:15]
	v_fma_f64 v[32:33], v[94:95], s[14:15], -v[76:77]
	s_mov_b32 s16, 0xe00740e9
	s_mov_b32 s23, 0x3fddbe06
	s_mov_b32 s22, 0x4267c47c
	s_waitcnt lgkmcnt(0)
	v_add_f64 v[106:107], v[22:23], -v[30:31]
	v_add_f64 v[2:3], v[14:15], v[2:3]
	v_add_f64 v[0:1], v[32:33], v[0:1]
	v_fma_f64 v[32:33], s[30:31], v[108:109], v[136:137]
	s_mov_b32 s17, 0x3fec55a7
	v_add_f64 v[98:99], v[20:21], v[28:29]
	v_mul_f64 v[78:79], v[106:107], s[22:23]
	v_add_f64 v[104:105], v[22:23], v[30:31]
	v_add_f64 v[2:3], v[32:33], v[2:3]
	v_fma_f64 v[32:33], v[98:99], s[16:17], -v[78:79]
	v_add_f64 v[114:115], v[20:21], -v[28:29]
	v_mul_f64 v[138:139], v[104:105], s[16:17]
	v_add_f64 v[0:1], v[32:33], v[0:1]
	v_fma_f64 v[32:33], s[22:23], v[114:115], v[138:139]
	v_add_f64 v[2:3], v[32:33], v[2:3]
	ds_read_b128 v[32:35], v155 offset:2592
	ds_read_b128 v[36:39], v155 offset:1152
	;; [unrolled: 1-line block ×4, first 2 shown]
	s_mov_b32 s24, 0x66966769
	s_mov_b32 s20, 0xebaa3ed8
	;; [unrolled: 1-line block ×3, first 2 shown]
	s_waitcnt lgkmcnt(2)
	v_add_f64 v[118:119], v[38:39], -v[34:35]
	s_mov_b32 s21, 0x3fbedb7d
	v_add_f64 v[110:111], v[36:37], v[32:33]
	v_mul_f64 v[140:141], v[118:119], s[24:25]
	v_add_f64 v[116:117], v[38:39], v[34:35]
	s_mov_b32 s40, 0x4bc48dbf
	v_fma_f64 v[48:49], v[110:111], s[20:21], -v[140:141]
	v_add_f64 v[126:127], v[36:37], -v[32:33]
	v_mul_f64 v[144:145], v[116:117], s[20:21]
	s_mov_b32 s26, 0x93053d00
	s_mov_b32 s41, 0x3fcea1e5
	s_waitcnt lgkmcnt(0)
	v_add_f64 v[124:125], v[42:43], -v[46:47]
	v_add_f64 v[0:1], v[48:49], v[0:1]
	v_fma_f64 v[48:49], s[24:25], v[126:127], v[144:145]
	s_mov_b32 s27, 0xbfef11f4
	v_add_f64 v[112:113], v[40:41], v[44:45]
	v_mul_f64 v[142:143], v[124:125], s[40:41]
	v_add_f64 v[120:121], v[42:43], v[46:47]
	v_add_f64 v[2:3], v[48:49], v[2:3]
	v_fma_f64 v[48:49], v[112:113], s[26:27], -v[142:143]
	v_add_f64 v[130:131], v[40:41], -v[44:45]
	v_mul_f64 v[146:147], v[120:121], s[26:27]
	v_add_f64 v[0:1], v[48:49], v[0:1]
	v_fma_f64 v[48:49], s[40:41], v[130:131], v[146:147]
	v_add_f64 v[2:3], v[48:49], v[2:3]
	ds_read_b128 v[48:51], v155 offset:1728
	ds_read_b128 v[52:55], v155 offset:2016
	s_mov_b32 s28, 0x1ea71119
	s_mov_b32 s35, 0x3fea55e2
	;; [unrolled: 1-line block ×4, first 2 shown]
	s_waitcnt lgkmcnt(0)
	v_add_f64 v[132:133], v[50:51], -v[54:55]
	v_add_f64 v[122:123], v[48:49], v[52:53]
	v_mul_f64 v[148:149], v[132:133], s[34:35]
	v_add_f64 v[128:129], v[50:51], v[54:55]
	v_fma_f64 v[56:57], v[122:123], s[28:29], -v[148:149]
	v_add_f64 v[134:135], v[48:49], -v[52:53]
	v_mul_f64 v[150:151], v[128:129], s[28:29]
	v_add_f64 v[0:1], v[56:57], v[0:1]
	v_fma_f64 v[56:57], s[34:35], v[134:135], v[150:151]
	v_add_f64 v[2:3], v[56:57], v[2:3]
	v_cmp_gt_u32_e64 s[2:3], 18, v84
	s_waitcnt lgkmcnt(0)
	; wave barrier
	s_and_saveexec_b64 s[18:19], s[2:3]
	s_cbranch_execz .LBB0_23
; %bb.22:
	s_mov_b32 s37, 0xbfcea1e5
	s_mov_b32 s36, s40
	v_mul_f64 v[158:159], v[96:97], s[36:37]
	s_mov_b32 s3, 0xbfe5384d
	s_mov_b32 s2, s30
	v_mul_f64 v[68:69], v[108:109], s[22:23]
	v_fma_f64 v[160:161], s[26:27], v[90:91], v[158:159]
	v_fma_f64 v[158:159], v[90:91], s[26:27], -v[158:159]
	v_mul_f64 v[64:65], v[114:115], s[2:3]
	v_fma_f64 v[70:71], s[16:17], v[100:101], v[68:69]
	v_add_f64 v[160:161], v[14:15], v[160:161]
	v_fma_f64 v[68:69], v[100:101], s[16:17], -v[68:69]
	v_add_f64 v[158:159], v[14:15], v[158:159]
	v_mul_f64 v[62:63], v[126:127], s[34:35]
	v_fma_f64 v[66:67], s[14:15], v[104:105], v[64:65]
	v_add_f64 v[70:71], v[70:71], v[160:161]
	v_add_f64 v[68:69], v[68:69], v[158:159]
	v_fma_f64 v[64:65], v[104:105], s[14:15], -v[64:65]
	v_mul_f64 v[60:61], v[130:131], s[12:13]
	v_fma_f64 v[58:59], s[28:29], v[116:117], v[62:63]
	v_add_f64 v[66:67], v[66:67], v[70:71]
	v_mul_f64 v[162:163], v[92:93], s[36:37]
	s_mov_b32 s39, 0x3fefc445
	s_mov_b32 s38, s24
	v_add_f64 v[64:65], v[64:65], v[68:69]
	v_fma_f64 v[62:63], v[116:117], s[28:29], -v[62:63]
	v_fma_f64 v[56:57], s[4:5], v[120:121], v[60:61]
	v_add_f64 v[58:59], v[58:59], v[66:67]
	v_mul_f64 v[160:161], v[102:103], s[22:23]
	v_fma_f64 v[164:165], v[88:89], s[26:27], -v[162:163]
	v_mul_f64 v[168:169], v[134:135], s[38:39]
	v_add_f64 v[62:63], v[62:63], v[64:65]
	v_fma_f64 v[60:61], v[120:121], s[4:5], -v[60:61]
	v_add_f64 v[56:57], v[56:57], v[58:59]
	v_mul_f64 v[70:71], v[106:107], s[2:3]
	v_fma_f64 v[58:59], v[94:95], s[16:17], -v[160:161]
	v_add_f64 v[164:165], v[12:13], v[164:165]
	v_fma_f64 v[64:65], v[128:129], s[20:21], -v[168:169]
	v_add_f64 v[60:61], v[60:61], v[62:63]
	v_fmac_f64_e32 v[162:163], s[26:27], v[88:89]
	v_mul_f64 v[66:67], v[118:119], s[34:35]
	v_add_f64 v[58:59], v[58:59], v[164:165]
	v_fma_f64 v[164:165], v[98:99], s[14:15], -v[70:71]
	v_add_f64 v[62:63], v[64:65], v[60:61]
	v_fmac_f64_e32 v[160:161], s[16:17], v[94:95]
	v_add_f64 v[60:61], v[12:13], v[162:163]
	v_add_f64 v[58:59], v[164:165], v[58:59]
	v_fma_f64 v[164:165], v[110:111], s[28:29], -v[66:67]
	v_fmac_f64_e32 v[70:71], s[14:15], v[98:99]
	v_add_f64 v[60:61], v[160:161], v[60:61]
	v_add_f64 v[58:59], v[164:165], v[58:59]
	v_mul_f64 v[164:165], v[124:125], s[12:13]
	v_fmac_f64_e32 v[66:67], s[28:29], v[110:111]
	v_add_f64 v[60:61], v[70:71], v[60:61]
	v_fma_f64 v[166:167], v[112:113], s[4:5], -v[164:165]
	v_fmac_f64_e32 v[164:165], s[4:5], v[112:113]
	v_add_f64 v[60:61], v[66:67], v[60:61]
	v_add_f64 v[60:61], v[164:165], v[60:61]
	v_mul_f64 v[164:165], v[96:97], s[2:3]
	v_mul_f64 v[158:159], v[134:135], s[34:35]
	s_mov_b32 s35, 0xbfea55e2
	v_mul_f64 v[162:163], v[108:109], s[38:39]
	v_fma_f64 v[66:67], s[14:15], v[90:91], v[164:165]
	v_mul_f64 v[160:161], v[114:115], s[34:35]
	v_fma_f64 v[64:65], s[20:21], v[100:101], v[162:163]
	v_add_f64 v[66:67], v[14:15], v[66:67]
	v_add_f64 v[166:167], v[166:167], v[58:59]
	v_fma_f64 v[58:59], s[20:21], v[128:129], v[168:169]
	v_mul_f64 v[170:171], v[132:133], s[38:39]
	v_mul_f64 v[70:71], v[126:127], s[40:41]
	v_add_f64 v[64:65], v[64:65], v[66:67]
	v_fma_f64 v[66:67], s[28:29], v[104:105], v[160:161]
	v_add_f64 v[58:59], v[58:59], v[56:57]
	v_fma_f64 v[56:57], v[122:123], s[20:21], -v[170:171]
	v_mul_f64 v[68:69], v[130:131], s[22:23]
	v_add_f64 v[64:65], v[66:67], v[64:65]
	v_fma_f64 v[66:67], s[26:27], v[116:117], v[70:71]
	v_add_f64 v[56:57], v[56:57], v[166:167]
	v_add_f64 v[64:65], v[66:67], v[64:65]
	v_fma_f64 v[66:67], s[16:17], v[120:121], v[68:69]
	v_mul_f64 v[166:167], v[92:93], s[2:3]
	v_fmac_f64_e32 v[170:171], s[20:21], v[122:123]
	v_add_f64 v[64:65], v[66:67], v[64:65]
	v_fma_f64 v[66:67], v[88:89], s[14:15], -v[166:167]
	v_mul_f64 v[168:169], v[102:103], s[38:39]
	v_fma_f64 v[164:165], v[90:91], s[14:15], -v[164:165]
	v_add_f64 v[60:61], v[170:171], v[60:61]
	v_add_f64 v[66:67], v[12:13], v[66:67]
	v_fma_f64 v[170:171], v[94:95], s[20:21], -v[168:169]
	v_fma_f64 v[162:163], v[100:101], s[20:21], -v[162:163]
	v_add_f64 v[164:165], v[14:15], v[164:165]
	v_add_f64 v[66:67], v[170:171], v[66:67]
	v_mul_f64 v[170:171], v[106:107], s[34:35]
	v_add_f64 v[162:163], v[162:163], v[164:165]
	v_fma_f64 v[160:161], v[104:105], s[28:29], -v[160:161]
	v_fma_f64 v[172:173], v[98:99], s[28:29], -v[170:171]
	v_add_f64 v[160:161], v[160:161], v[162:163]
	v_fma_f64 v[70:71], v[116:117], s[26:27], -v[70:71]
	v_add_f64 v[66:67], v[172:173], v[66:67]
	v_mul_f64 v[172:173], v[118:119], s[40:41]
	v_add_f64 v[70:71], v[70:71], v[160:161]
	v_fma_f64 v[68:69], v[120:121], s[16:17], -v[68:69]
	v_fmac_f64_e32 v[166:167], s[14:15], v[88:89]
	v_fma_f64 v[174:175], v[110:111], s[26:27], -v[172:173]
	v_add_f64 v[68:69], v[68:69], v[70:71]
	v_fmac_f64_e32 v[168:169], s[20:21], v[94:95]
	v_add_f64 v[70:71], v[12:13], v[166:167]
	v_add_f64 v[66:67], v[174:175], v[66:67]
	v_mul_f64 v[174:175], v[124:125], s[22:23]
	v_add_f64 v[70:71], v[168:169], v[70:71]
	v_fmac_f64_e32 v[170:171], s[28:29], v[98:99]
	v_fma_f64 v[176:177], v[112:113], s[16:17], -v[174:175]
	v_mul_f64 v[178:179], v[134:135], s[12:13]
	v_add_f64 v[70:71], v[170:171], v[70:71]
	v_fmac_f64_e32 v[172:173], s[26:27], v[110:111]
	v_add_f64 v[176:177], v[176:177], v[66:67]
	v_fma_f64 v[66:67], s[4:5], v[128:129], v[178:179]
	v_mul_f64 v[180:181], v[132:133], s[12:13]
	v_add_f64 v[70:71], v[172:173], v[70:71]
	v_fmac_f64_e32 v[174:175], s[16:17], v[112:113]
	v_add_f64 v[150:151], v[150:151], -v[158:159]
	v_mul_f64 v[158:159], v[130:131], s[40:41]
	v_add_f64 v[66:67], v[66:67], v[64:65]
	v_fma_f64 v[64:65], v[122:123], s[4:5], -v[180:181]
	v_add_f64 v[160:161], v[174:175], v[70:71]
	v_fma_f64 v[70:71], v[128:129], s[4:5], -v[178:179]
	v_fmac_f64_e32 v[180:181], s[4:5], v[122:123]
	v_add_f64 v[146:147], v[146:147], -v[158:159]
	v_mul_f64 v[158:159], v[126:127], s[24:25]
	v_add_f64 v[70:71], v[70:71], v[68:69]
	v_add_f64 v[68:69], v[180:181], v[160:161]
	v_mul_f64 v[160:161], v[96:97], s[12:13]
	v_add_f64 v[144:145], v[144:145], -v[158:159]
	v_mul_f64 v[158:159], v[114:115], s[22:23]
	v_add_f64 v[138:139], v[138:139], -v[158:159]
	;; [unrolled: 2-line block ×3, first 2 shown]
	v_add_f64 v[136:137], v[136:137], -v[158:159]
	v_add_f64 v[74:75], v[14:15], v[74:75]
	v_add_f64 v[74:75], v[136:137], v[74:75]
	v_mul_f64 v[162:163], v[88:89], s[4:5]
	v_add_f64 v[74:75], v[138:139], v[74:75]
	v_mul_f64 v[164:165], v[94:95], s[14:15]
	v_add_f64 v[74:75], v[144:145], v[74:75]
	v_add_f64 v[72:73], v[162:163], v[72:73]
	v_mul_f64 v[158:159], v[98:99], s[16:17]
	v_add_f64 v[74:75], v[146:147], v[74:75]
	v_add_f64 v[76:77], v[164:165], v[76:77]
	;; [unrolled: 1-line block ×3, first 2 shown]
	v_mul_f64 v[160:161], v[110:111], s[20:21]
	v_add_f64 v[74:75], v[150:151], v[74:75]
	v_add_f64 v[78:79], v[158:159], v[78:79]
	;; [unrolled: 1-line block ×3, first 2 shown]
	v_mul_f64 v[150:151], v[96:97], s[24:25]
	v_mul_f64 v[136:137], v[112:113], s[26:27]
	;; [unrolled: 1-line block ×3, first 2 shown]
	v_add_f64 v[140:141], v[160:161], v[140:141]
	v_add_f64 v[72:73], v[78:79], v[72:73]
	s_mov_b32 s41, 0x3fedeba7
	s_mov_b32 s40, s12
	v_mul_f64 v[146:147], v[108:109], s[36:37]
	v_fma_f64 v[158:159], s[20:21], v[90:91], v[150:151]
	v_add_f64 v[138:139], v[138:139], v[148:149]
	v_add_f64 v[136:137], v[136:137], v[142:143]
	;; [unrolled: 1-line block ×3, first 2 shown]
	v_mul_f64 v[142:143], v[114:115], s[40:41]
	v_fma_f64 v[148:149], s[26:27], v[100:101], v[146:147]
	v_add_f64 v[158:159], v[14:15], v[158:159]
	v_add_f64 v[72:73], v[136:137], v[72:73]
	v_mul_f64 v[140:141], v[126:127], s[22:23]
	v_fma_f64 v[144:145], s[4:5], v[104:105], v[142:143]
	v_add_f64 v[148:149], v[148:149], v[158:159]
	v_add_f64 v[72:73], v[138:139], v[72:73]
	v_mul_f64 v[138:139], v[130:131], s[34:35]
	v_fma_f64 v[78:79], s[16:17], v[116:117], v[140:141]
	v_add_f64 v[144:145], v[144:145], v[148:149]
	v_mul_f64 v[162:163], v[92:93], s[24:25]
	v_fma_f64 v[76:77], s[28:29], v[120:121], v[138:139]
	v_add_f64 v[78:79], v[78:79], v[144:145]
	v_mul_f64 v[160:161], v[102:103], s[36:37]
	v_fma_f64 v[164:165], v[88:89], s[20:21], -v[162:163]
	v_fma_f64 v[150:151], v[90:91], s[20:21], -v[150:151]
	v_add_f64 v[76:77], v[76:77], v[78:79]
	v_mul_f64 v[158:159], v[106:107], s[40:41]
	v_fma_f64 v[78:79], v[94:95], s[26:27], -v[160:161]
	v_add_f64 v[164:165], v[12:13], v[164:165]
	v_fma_f64 v[146:147], v[100:101], s[26:27], -v[146:147]
	v_add_f64 v[150:151], v[14:15], v[150:151]
	v_mul_f64 v[148:149], v[118:119], s[22:23]
	v_add_f64 v[78:79], v[78:79], v[164:165]
	v_fma_f64 v[164:165], v[98:99], s[4:5], -v[158:159]
	v_fma_f64 v[142:143], v[104:105], s[4:5], -v[142:143]
	v_add_f64 v[146:147], v[146:147], v[150:151]
	v_mul_f64 v[144:145], v[124:125], s[34:35]
	v_add_f64 v[78:79], v[164:165], v[78:79]
	v_fma_f64 v[164:165], v[110:111], s[16:17], -v[148:149]
	;; [unrolled: 5-line block ×3, first 2 shown]
	v_fma_f64 v[138:139], v[120:121], s[28:29], -v[138:139]
	v_add_f64 v[140:141], v[140:141], v[142:143]
	v_add_f64 v[164:165], v[164:165], v[78:79]
	v_fma_f64 v[78:79], s[14:15], v[128:129], v[136:137]
	v_fma_f64 v[136:137], v[128:129], s[14:15], -v[136:137]
	v_add_f64 v[138:139], v[138:139], v[140:141]
	v_fmac_f64_e32 v[162:163], s[20:21], v[88:89]
	v_mul_f64 v[166:167], v[132:133], s[2:3]
	v_add_f64 v[138:139], v[136:137], v[138:139]
	v_fmac_f64_e32 v[160:161], s[26:27], v[94:95]
	v_add_f64 v[136:137], v[12:13], v[162:163]
	v_add_f64 v[78:79], v[78:79], v[76:77]
	v_fma_f64 v[76:77], v[122:123], s[14:15], -v[166:167]
	v_fmac_f64_e32 v[158:159], s[4:5], v[98:99]
	v_add_f64 v[136:137], v[160:161], v[136:137]
	v_mul_f64 v[162:163], v[96:97], s[34:35]
	v_add_f64 v[76:77], v[76:77], v[164:165]
	v_fmac_f64_e32 v[148:149], s[16:17], v[110:111]
	v_add_f64 v[136:137], v[158:159], v[136:137]
	v_mul_f64 v[158:159], v[108:109], s[12:13]
	v_fma_f64 v[164:165], s[28:29], v[90:91], v[162:163]
	v_fma_f64 v[162:163], v[90:91], s[28:29], -v[162:163]
	v_add_f64 v[136:137], v[148:149], v[136:137]
	v_mul_f64 v[148:149], v[114:115], s[36:37]
	v_fma_f64 v[160:161], s[4:5], v[100:101], v[158:159]
	v_add_f64 v[164:165], v[14:15], v[164:165]
	v_fma_f64 v[158:159], v[100:101], s[4:5], -v[158:159]
	v_add_f64 v[162:163], v[14:15], v[162:163]
	v_fmac_f64_e32 v[144:145], s[28:29], v[112:113]
	v_mul_f64 v[146:147], v[126:127], s[30:31]
	v_fma_f64 v[150:151], s[26:27], v[104:105], v[148:149]
	v_add_f64 v[160:161], v[160:161], v[164:165]
	v_add_f64 v[158:159], v[158:159], v[162:163]
	v_fma_f64 v[148:149], v[104:105], s[26:27], -v[148:149]
	v_add_f64 v[136:137], v[144:145], v[136:137]
	v_mul_f64 v[144:145], v[130:131], s[38:39]
	v_fma_f64 v[142:143], s[14:15], v[116:117], v[146:147]
	v_add_f64 v[150:151], v[150:151], v[160:161]
	v_mul_f64 v[160:161], v[92:93], s[34:35]
	v_add_f64 v[148:149], v[148:149], v[158:159]
	v_fma_f64 v[146:147], v[116:117], s[14:15], -v[146:147]
	v_fma_f64 v[140:141], s[20:21], v[120:121], v[144:145]
	v_add_f64 v[142:143], v[142:143], v[150:151]
	v_mul_f64 v[150:151], v[102:103], s[12:13]
	v_fma_f64 v[164:165], v[88:89], s[28:29], -v[160:161]
	v_mul_f64 v[172:173], v[134:135], s[22:23]
	v_add_f64 v[146:147], v[146:147], v[148:149]
	v_fma_f64 v[144:145], v[120:121], s[20:21], -v[144:145]
	v_add_f64 v[8:9], v[12:13], v[8:9]
	v_add_f64 v[140:141], v[140:141], v[142:143]
	v_fma_f64 v[142:143], v[94:95], s[4:5], -v[150:151]
	v_add_f64 v[164:165], v[12:13], v[164:165]
	v_add_f64 v[144:145], v[144:145], v[146:147]
	v_fma_f64 v[146:147], v[128:129], s[16:17], -v[172:173]
	v_fmac_f64_e32 v[160:161], s[28:29], v[88:89]
	v_add_f64 v[10:11], v[14:15], v[10:11]
	v_add_f64 v[8:9], v[8:9], v[16:17]
	v_fmac_f64_e32 v[166:167], s[14:15], v[122:123]
	v_add_f64 v[142:143], v[142:143], v[164:165]
	v_mul_f64 v[164:165], v[106:107], s[36:37]
	v_mul_f64 v[174:175], v[132:133], s[22:23]
	v_add_f64 v[146:147], v[146:147], v[144:145]
	v_fmac_f64_e32 v[150:151], s[4:5], v[94:95]
	v_add_f64 v[144:145], v[12:13], v[160:161]
	s_mov_b32 s23, 0xbfddbe06
	v_add_f64 v[10:11], v[10:11], v[18:19]
	v_add_f64 v[8:9], v[8:9], v[20:21]
	;; [unrolled: 1-line block ×3, first 2 shown]
	v_fma_f64 v[166:167], v[98:99], s[26:27], -v[164:165]
	v_fmac_f64_e32 v[164:165], s[26:27], v[98:99]
	v_add_f64 v[144:145], v[150:151], v[144:145]
	v_mul_f64 v[96:97], v[96:97], s[22:23]
	v_add_f64 v[10:11], v[10:11], v[22:23]
	v_add_f64 v[8:9], v[8:9], v[36:37]
	;; [unrolled: 1-line block ×3, first 2 shown]
	v_mul_f64 v[162:163], v[108:109], s[34:35]
	v_fma_f64 v[164:165], s[16:17], v[90:91], v[96:97]
	v_add_f64 v[10:11], v[10:11], v[38:39]
	v_add_f64 v[8:9], v[8:9], v[40:41]
	v_mul_f64 v[114:115], v[114:115], s[24:25]
	v_fma_f64 v[108:109], s[28:29], v[100:101], v[162:163]
	v_add_f64 v[164:165], v[14:15], v[164:165]
	v_add_f64 v[10:11], v[10:11], v[42:43]
	v_add_f64 v[8:9], v[8:9], v[48:49]
	v_mul_f64 v[126:127], v[126:127], s[12:13]
	v_fma_f64 v[160:161], s[20:21], v[104:105], v[114:115]
	v_add_f64 v[108:109], v[108:109], v[164:165]
	v_mul_f64 v[92:93], v[92:93], s[22:23]
	v_add_f64 v[10:11], v[10:11], v[50:51]
	v_add_f64 v[8:9], v[8:9], v[52:53]
	;; [unrolled: 1-line block ×3, first 2 shown]
	v_mul_f64 v[166:167], v[118:119], s[30:31]
	v_fma_f64 v[158:159], s[4:5], v[116:117], v[126:127]
	v_add_f64 v[108:109], v[160:161], v[108:109]
	v_mul_f64 v[102:103], v[102:103], s[34:35]
	v_fma_f64 v[160:161], v[88:89], s[16:17], -v[92:93]
	v_fma_f64 v[90:91], v[90:91], s[16:17], -v[96:97]
	v_fmac_f64_e32 v[92:93], s[16:17], v[88:89]
	v_add_f64 v[10:11], v[10:11], v[54:55]
	v_add_f64 v[8:9], v[8:9], v[44:45]
	v_fma_f64 v[168:169], v[110:111], s[14:15], -v[166:167]
	v_add_f64 v[108:109], v[158:159], v[108:109]
	v_mul_f64 v[158:159], v[106:107], s[24:25]
	v_fma_f64 v[106:107], v[94:95], s[28:29], -v[102:103]
	v_add_f64 v[160:161], v[12:13], v[160:161]
	v_fma_f64 v[100:101], v[100:101], s[28:29], -v[162:163]
	v_add_f64 v[90:91], v[14:15], v[90:91]
	v_fmac_f64_e32 v[102:103], s[28:29], v[94:95]
	v_add_f64 v[88:89], v[12:13], v[92:93]
	v_add_f64 v[10:11], v[10:11], v[46:47]
	;; [unrolled: 1-line block ×4, first 2 shown]
	v_mul_f64 v[168:169], v[124:125], s[38:39]
	v_mul_f64 v[130:131], v[130:131], s[2:3]
	;; [unrolled: 1-line block ×3, first 2 shown]
	v_add_f64 v[106:107], v[106:107], v[160:161]
	v_fma_f64 v[160:161], v[98:99], s[20:21], -v[158:159]
	v_fma_f64 v[104:105], v[104:105], s[20:21], -v[114:115]
	v_add_f64 v[90:91], v[100:101], v[90:91]
	v_fmac_f64_e32 v[158:159], s[20:21], v[98:99]
	v_add_f64 v[88:89], v[102:103], v[88:89]
	v_add_f64 v[10:11], v[10:11], v[34:35]
	;; [unrolled: 1-line block ×3, first 2 shown]
	v_fma_f64 v[170:171], v[112:113], s[20:21], -v[168:169]
	v_fmac_f64_e32 v[166:167], s[14:15], v[110:111]
	v_mul_f64 v[134:135], v[134:135], s[36:37]
	v_fma_f64 v[150:151], s[14:15], v[120:121], v[130:131]
	v_mul_f64 v[124:125], v[124:125], s[2:3]
	v_add_f64 v[106:107], v[160:161], v[106:107]
	v_fma_f64 v[160:161], v[110:111], s[4:5], -v[118:119]
	v_fma_f64 v[116:117], v[116:117], s[4:5], -v[126:127]
	v_add_f64 v[90:91], v[104:105], v[90:91]
	v_fmac_f64_e32 v[118:119], s[4:5], v[110:111]
	v_add_f64 v[88:89], v[158:159], v[88:89]
	v_add_f64 v[10:11], v[10:11], v[30:31]
	;; [unrolled: 1-line block ×4, first 2 shown]
	v_fma_f64 v[142:143], s[16:17], v[128:129], v[172:173]
	v_fmac_f64_e32 v[168:169], s[20:21], v[112:113]
	v_add_f64 v[144:145], v[166:167], v[144:145]
	v_fma_f64 v[148:149], s[26:27], v[128:129], v[134:135]
	v_add_f64 v[108:109], v[150:151], v[108:109]
	v_mul_f64 v[132:133], v[132:133], s[36:37]
	v_fma_f64 v[150:151], v[112:113], s[14:15], -v[124:125]
	v_add_f64 v[106:107], v[160:161], v[106:107]
	v_fma_f64 v[120:121], v[120:121], s[14:15], -v[130:131]
	v_add_f64 v[90:91], v[116:117], v[90:91]
	v_fmac_f64_e32 v[124:125], s[14:15], v[112:113]
	v_add_f64 v[88:89], v[118:119], v[88:89]
	v_add_f64 v[10:11], v[10:11], v[26:27]
	;; [unrolled: 1-line block ×3, first 2 shown]
	v_mul_u32_u24_e32 v8, 0xc0, v84
	v_add_f64 v[142:143], v[142:143], v[140:141]
	v_fma_f64 v[140:141], v[122:123], s[16:17], -v[174:175]
	v_fmac_f64_e32 v[174:175], s[16:17], v[122:123]
	v_add_f64 v[144:145], v[168:169], v[144:145]
	v_add_f64 v[108:109], v[148:149], v[108:109]
	v_fma_f64 v[148:149], v[122:123], s[26:27], -v[132:133]
	v_add_f64 v[106:107], v[150:151], v[106:107]
	v_fma_f64 v[128:129], v[128:129], s[26:27], -v[134:135]
	v_add_f64 v[90:91], v[120:121], v[90:91]
	v_fmac_f64_e32 v[132:133], s[26:27], v[122:123]
	v_add_f64 v[88:89], v[124:125], v[88:89]
	v_add_f64 v[6:7], v[10:11], v[6:7]
	v_add3_u32 v8, v156, v8, v153
	v_add_f64 v[64:65], v[64:65], v[176:177]
	v_add_f64 v[140:141], v[140:141], v[170:171]
	;; [unrolled: 1-line block ×6, first 2 shown]
	ds_write_b128 v8, v[4:7]
	ds_write_b128 v8, v[88:91] offset:16
	ds_write_b128 v8, v[144:147] offset:32
	;; [unrolled: 1-line block ×12, first 2 shown]
.LBB0_23:
	s_or_b64 exec, exec, s[18:19]
	v_add_u32_e32 v40, -13, v84
	v_cndmask_b32_e64 v41, v40, v84, s[0:1]
	v_lshlrev_b32_e32 v4, 3, v41
	v_mov_b32_e32 v5, 0
	v_lshl_add_u64 v[8:9], v[4:5], 4, s[8:9]
	s_waitcnt lgkmcnt(0)
	; wave barrier
	s_waitcnt lgkmcnt(0)
	global_load_dwordx4 v[4:7], v[8:9], off
	global_load_dwordx4 v[12:15], v[8:9], off offset:16
	global_load_dwordx4 v[16:19], v[8:9], off offset:32
	;; [unrolled: 1-line block ×7, first 2 shown]
	ds_read_b128 v[8:11], v154
	ds_read_b128 v[42:45], v155 offset:416
	ds_read_b128 v[46:49], v155 offset:832
	;; [unrolled: 1-line block ×8, first 2 shown]
	s_mov_b32 s14, 0xa2cf5039
	s_mov_b32 s3, 0x3fe491b7
	;; [unrolled: 1-line block ×16, first 2 shown]
	v_lshlrev_b32_e32 v41, 4, v41
	s_waitcnt lgkmcnt(0)
	; wave barrier
	s_waitcnt vmcnt(7) lgkmcnt(0)
	v_mul_f64 v[74:75], v[44:45], v[6:7]
	v_mul_f64 v[6:7], v[42:43], v[6:7]
	s_waitcnt vmcnt(6)
	v_mul_f64 v[76:77], v[48:49], v[14:15]
	v_mul_f64 v[14:15], v[46:47], v[14:15]
	s_waitcnt vmcnt(5)
	;; [unrolled: 3-line block ×3, first 2 shown]
	v_mul_f64 v[94:95], v[68:69], v[34:35]
	s_waitcnt vmcnt(0)
	v_mul_f64 v[96:97], v[72:73], v[38:39]
	v_mul_f64 v[38:39], v[70:71], v[38:39]
	;; [unrolled: 1-line block ×3, first 2 shown]
	v_fmac_f64_e32 v[74:75], v[42:43], v[4:5]
	v_fma_f64 v[4:5], v[44:45], v[4:5], -v[6:7]
	v_fmac_f64_e32 v[76:77], v[46:47], v[12:13]
	v_fma_f64 v[6:7], v[48:49], v[12:13], -v[14:15]
	v_fma_f64 v[12:13], v[52:53], v[16:17], -v[18:19]
	v_fmac_f64_e32 v[96:97], v[70:71], v[36:37]
	v_fma_f64 v[18:19], v[72:73], v[36:37], -v[38:39]
	v_mul_f64 v[88:89], v[56:57], v[22:23]
	v_mul_f64 v[22:23], v[54:55], v[22:23]
	;; [unrolled: 1-line block ×4, first 2 shown]
	v_fmac_f64_e32 v[78:79], v[50:51], v[16:17]
	v_fmac_f64_e32 v[94:95], v[66:67], v[32:33]
	v_fma_f64 v[16:17], v[68:69], v[32:33], -v[34:35]
	v_add_f64 v[36:37], v[74:75], v[96:97]
	v_add_f64 v[34:35], v[4:5], -v[18:19]
	v_mul_f64 v[90:91], v[60:61], v[26:27]
	v_mul_f64 v[26:27], v[58:59], v[26:27]
	v_fma_f64 v[42:43], v[56:57], v[20:21], -v[22:23]
	v_fmac_f64_e32 v[92:93], v[62:63], v[28:29]
	v_fma_f64 v[14:15], v[64:65], v[28:29], -v[30:31]
	v_add_f64 v[38:39], v[4:5], v[18:19]
	v_add_f64 v[46:47], v[76:77], v[94:95]
	;; [unrolled: 1-line block ×3, first 2 shown]
	v_add_f64 v[32:33], v[74:75], -v[96:97]
	v_add_f64 v[56:57], v[6:7], -v[16:17]
	v_mul_f64 v[6:7], v[34:35], s[2:3]
	v_fma_f64 v[4:5], s[14:15], v[36:37], v[8:9]
	v_fmac_f64_e32 v[88:89], v[54:55], v[20:21]
	v_fmac_f64_e32 v[90:91], v[58:59], v[24:25]
	v_fma_f64 v[44:45], v[60:61], v[24:25], -v[26:27]
	v_add_f64 v[50:51], v[78:79], v[92:93]
	v_add_f64 v[52:53], v[12:13], v[14:15]
	v_add_f64 v[54:55], v[76:77], -v[94:95]
	v_add_f64 v[60:61], v[12:13], -v[14:15]
	v_mul_f64 v[16:17], v[32:33], s[2:3]
	v_fma_f64 v[14:15], s[14:15], v[38:39], v[10:11]
	v_fmac_f64_e32 v[6:7], s[4:5], v[56:57]
	v_fmac_f64_e32 v[4:5], s[18:19], v[46:47]
	v_add_f64 v[58:59], v[78:79], -v[92:93]
	v_add_f64 v[64:65], v[42:43], -v[44:45]
	v_fmac_f64_e32 v[16:17], s[4:5], v[54:55]
	v_fmac_f64_e32 v[6:7], s[12:13], v[60:61]
	;; [unrolled: 1-line block ×3, first 2 shown]
	v_fmac_f64_e32 v[4:5], -0.5, v[50:51]
	v_add_f64 v[66:67], v[88:89], v[90:91]
	v_add_f64 v[62:63], v[88:89], -v[90:91]
	v_fmac_f64_e32 v[16:17], s[12:13], v[58:59]
	v_fmac_f64_e32 v[6:7], s[16:17], v[64:65]
	v_fmac_f64_e32 v[14:15], -0.5, v[52:53]
	v_add_f64 v[68:69], v[42:43], v[44:45]
	v_fmac_f64_e32 v[4:5], s[20:21], v[66:67]
	v_fmac_f64_e32 v[16:17], s[16:17], v[62:63]
	;; [unrolled: 1-line block ×3, first 2 shown]
	v_add_f64 v[12:13], v[4:5], -v[6:7]
	v_add_f64 v[14:15], v[16:17], v[14:15]
	v_mov_b64_e32 v[4:5], v[12:13]
	v_fmac_f64_e32 v[4:5], 2.0, v[6:7]
	v_mov_b64_e32 v[6:7], v[14:15]
	s_mov_b32 s3, 0xbfe491b7
	v_fmac_f64_e32 v[6:7], -2.0, v[16:17]
	v_mul_f64 v[22:23], v[64:65], s[2:3]
	v_fma_f64 v[16:17], s[14:15], v[66:67], v[8:9]
	v_mul_f64 v[24:25], v[62:63], s[2:3]
	v_fmac_f64_e32 v[22:23], s[4:5], v[34:35]
	v_fma_f64 v[18:19], s[14:15], v[68:69], v[10:11]
	v_fmac_f64_e32 v[16:17], s[18:19], v[36:37]
	v_fmac_f64_e32 v[24:25], s[4:5], v[32:33]
	;; [unrolled: 1-line block ×4, first 2 shown]
	v_fmac_f64_e32 v[16:17], -0.5, v[50:51]
	v_fmac_f64_e32 v[24:25], s[22:23], v[58:59]
	v_fmac_f64_e32 v[22:23], s[16:17], v[56:57]
	v_fmac_f64_e32 v[18:19], -0.5, v[52:53]
	v_fmac_f64_e32 v[16:17], s[20:21], v[46:47]
	v_fmac_f64_e32 v[24:25], s[16:17], v[54:55]
	;; [unrolled: 1-line block ×3, first 2 shown]
	v_add_f64 v[16:17], v[16:17], -v[22:23]
	v_add_f64 v[18:19], v[24:25], v[18:19]
	v_mov_b64_e32 v[20:21], v[16:17]
	v_fmac_f64_e32 v[20:21], 2.0, v[22:23]
	v_mov_b64_e32 v[22:23], v[18:19]
	v_fmac_f64_e32 v[22:23], -2.0, v[24:25]
	v_add_f64 v[24:25], v[62:63], v[32:33]
	v_add_f64 v[26:27], v[64:65], v[34:35]
	v_mul_f64 v[62:63], v[62:63], s[4:5]
	v_mul_f64 v[64:65], v[64:65], s[4:5]
	v_add_f64 v[28:29], v[24:25], -v[54:55]
	v_add_f64 v[30:31], v[26:27], -v[56:57]
	v_fma_f64 v[54:55], v[54:55], s[2:3], -v[62:63]
	v_fma_f64 v[56:57], v[56:57], s[2:3], -v[64:65]
	v_add_f64 v[74:75], v[46:47], v[36:37]
	v_add_f64 v[76:77], v[48:49], v[38:39]
	v_fmac_f64_e32 v[54:55], s[12:13], v[58:59]
	v_fmac_f64_e32 v[56:57], s[12:13], v[60:61]
	;; [unrolled: 1-line block ×4, first 2 shown]
	v_add_f64 v[32:33], v[50:51], v[74:75]
	v_add_f64 v[34:35], v[52:53], v[76:77]
	;; [unrolled: 1-line block ×10, first 2 shown]
	v_fmac_f64_e32 v[8:9], s[14:15], v[46:47]
	v_fmac_f64_e32 v[10:11], s[14:15], v[48:49]
	;; [unrolled: 1-line block ×4, first 2 shown]
	v_add_f64 v[78:79], v[66:67], v[74:75]
	v_add_f64 v[92:93], v[68:69], v[76:77]
	v_fmac_f64_e32 v[8:9], -0.5, v[50:51]
	v_fmac_f64_e32 v[10:11], -0.5, v[52:53]
	v_fmac_f64_e32 v[24:25], -0.5, v[78:79]
	v_fmac_f64_e32 v[26:27], -0.5, v[92:93]
	v_fmac_f64_e32 v[8:9], s[20:21], v[36:37]
	v_fmac_f64_e32 v[10:11], s[20:21], v[38:39]
	v_mov_b32_e32 v42, 0x750
	v_cmp_lt_u32_e64 s[2:3], 12, v84
	v_fmac_f64_e32 v[24:25], s[22:23], v[30:31]
	v_fmac_f64_e32 v[26:27], s[12:13], v[28:29]
	v_add_f64 v[8:9], v[8:9], -v[56:57]
	v_add_f64 v[10:11], v[54:55], v[10:11]
	v_cndmask_b32_e64 v42, 0, v42, s[2:3]
	v_mul_f64 v[70:71], v[28:29], s[12:13]
	v_mul_f64 v[72:73], v[30:31], s[12:13]
	v_mov_b64_e32 v[28:29], v[24:25]
	v_mov_b64_e32 v[30:31], v[26:27]
	;; [unrolled: 1-line block ×4, first 2 shown]
	v_add_u32_e32 v42, 0, v42
	v_fmac_f64_e32 v[28:29], 2.0, v[72:73]
	v_fmac_f64_e32 v[30:31], -2.0, v[70:71]
	v_fmac_f64_e32 v[36:37], 2.0, v[56:57]
	v_fmac_f64_e32 v[38:39], -2.0, v[54:55]
	v_add3_u32 v41, v42, v41, v153
	ds_write_b128 v41, v[32:35]
	ds_write_b128 v41, v[12:15] offset:208
	ds_write_b128 v41, v[16:19] offset:416
	;; [unrolled: 1-line block ×8, first 2 shown]
	s_waitcnt lgkmcnt(0)
	; wave barrier
	s_waitcnt lgkmcnt(0)
	ds_read_b128 v[20:23], v154
	ds_read_b128 v[8:11], v155 offset:416
	ds_read_b128 v[36:39], v155 offset:1872
	;; [unrolled: 1-line block ×7, first 2 shown]
	s_and_saveexec_b64 s[2:3], s[0:1]
	s_cbranch_execz .LBB0_25
; %bb.24:
	ds_read_b128 v[4:7], v155 offset:1664
	ds_read_b128 v[0:3], v155 offset:3536
	v_add_u32_e32 v40, 0x68, v84
.LBB0_25:
	s_or_b64 exec, exec, s[2:3]
	global_load_dwordx4 v[42:45], v[86:87], off offset:1664
	v_lshl_add_u64 v[58:59], v[84:85], 4, s[8:9]
	global_load_dwordx4 v[46:49], v[58:59], off offset:2080
	global_load_dwordx4 v[50:53], v[58:59], off offset:2496
	;; [unrolled: 1-line block ×3, first 2 shown]
	s_waitcnt lgkmcnt(0)
	; wave barrier
	s_waitcnt vmcnt(3) lgkmcnt(0)
	v_mul_f64 v[58:59], v[38:39], v[44:45]
	v_mul_f64 v[44:45], v[36:37], v[44:45]
	v_fmac_f64_e32 v[58:59], v[36:37], v[42:43]
	v_fma_f64 v[36:37], v[38:39], v[42:43], -v[44:45]
	s_waitcnt vmcnt(2)
	v_mul_f64 v[38:39], v[26:27], v[48:49]
	v_mul_f64 v[42:43], v[24:25], v[48:49]
	s_waitcnt vmcnt(1)
	v_mul_f64 v[44:45], v[34:35], v[52:53]
	v_mul_f64 v[48:49], v[32:33], v[52:53]
	;; [unrolled: 3-line block ×3, first 2 shown]
	v_fmac_f64_e32 v[38:39], v[24:25], v[46:47]
	v_fma_f64 v[42:43], v[26:27], v[46:47], -v[42:43]
	v_fmac_f64_e32 v[44:45], v[32:33], v[50:51]
	v_fma_f64 v[34:35], v[34:35], v[50:51], -v[48:49]
	;; [unrolled: 2-line block ×3, first 2 shown]
	v_add_f64 v[24:25], v[20:21], -v[58:59]
	v_add_f64 v[26:27], v[22:23], -v[36:37]
	v_fma_f64 v[20:21], v[20:21], 2.0, -v[24:25]
	v_fma_f64 v[22:23], v[22:23], 2.0, -v[26:27]
	v_add_f64 v[28:29], v[8:9], -v[38:39]
	v_add_f64 v[30:31], v[10:11], -v[42:43]
	v_add_f64 v[32:33], v[12:13], -v[44:45]
	v_add_f64 v[34:35], v[14:15], -v[34:35]
	v_add_f64 v[36:37], v[16:17], -v[52:53]
	v_add_f64 v[38:39], v[18:19], -v[46:47]
	ds_write_b128 v155, v[24:27] offset:1872
	v_fma_f64 v[8:9], v[8:9], 2.0, -v[28:29]
	v_fma_f64 v[10:11], v[10:11], 2.0, -v[30:31]
	;; [unrolled: 1-line block ×6, first 2 shown]
	ds_write_b128 v155, v[20:23]
	ds_write_b128 v155, v[28:31] offset:2288
	ds_write_b128 v155, v[32:35] offset:2704
	;; [unrolled: 1-line block ×6, first 2 shown]
	s_and_saveexec_b64 s[2:3], s[0:1]
	s_cbranch_execz .LBB0_27
; %bb.26:
	v_mov_b32_e32 v41, 0
	v_lshl_add_u64 v[8:9], v[40:41], 4, s[8:9]
	global_load_dwordx4 v[8:11], v[8:9], off offset:1664
	s_waitcnt vmcnt(0)
	v_mul_f64 v[12:13], v[0:1], v[10:11]
	v_mul_f64 v[10:11], v[2:3], v[10:11]
	v_fma_f64 v[2:3], v[2:3], v[8:9], -v[12:13]
	v_fmac_f64_e32 v[10:11], v[0:1], v[8:9]
	v_add_f64 v[2:3], v[6:7], -v[2:3]
	v_add_f64 v[0:1], v[4:5], -v[10:11]
	v_fma_f64 v[6:7], v[6:7], 2.0, -v[2:3]
	v_fma_f64 v[4:5], v[4:5], 2.0, -v[0:1]
	ds_write_b128 v155, v[4:7] offset:1664
	ds_write_b128 v155, v[0:3] offset:3536
.LBB0_27:
	s_or_b64 exec, exec, s[2:3]
	s_waitcnt lgkmcnt(0)
	; wave barrier
	s_waitcnt lgkmcnt(0)
	s_and_saveexec_b64 s[0:1], vcc
	s_cbranch_execz .LBB0_29
; %bb.28:
	v_mul_lo_u32 v0, s11, v82
	v_mul_lo_u32 v1, s10, v83
	v_mad_u64_u32 v[4:5], s[0:1], s10, v82, 0
	v_lshl_add_u32 v12, v84, 4, v152
	v_add3_u32 v5, v5, v1, v0
	ds_read_b128 v[0:3], v12
	v_lshl_add_u64 v[4:5], v[4:5], 4, s[6:7]
	v_lshl_add_u64 v[8:9], v[80:81], 4, v[4:5]
	ds_read_b128 v[4:7], v12 offset:416
	v_mov_b32_e32 v85, 0
	v_lshl_add_u64 v[10:11], v[84:85], 4, v[8:9]
	s_waitcnt lgkmcnt(1)
	global_store_dwordx4 v[10:11], v[0:3], off
	s_nop 1
	v_add_u32_e32 v0, 26, v84
	v_mov_b32_e32 v1, v85
	v_lshl_add_u64 v[0:1], v[0:1], 4, v[8:9]
	s_waitcnt lgkmcnt(0)
	global_store_dwordx4 v[0:1], v[4:7], off
	ds_read_b128 v[0:3], v12 offset:832
	s_nop 0
	v_add_u32_e32 v4, 52, v84
	v_mov_b32_e32 v5, v85
	v_lshl_add_u64 v[10:11], v[4:5], 4, v[8:9]
	ds_read_b128 v[4:7], v12 offset:1248
	s_waitcnt lgkmcnt(1)
	global_store_dwordx4 v[10:11], v[0:3], off
	s_nop 1
	v_add_u32_e32 v0, 0x4e, v84
	v_mov_b32_e32 v1, v85
	v_lshl_add_u64 v[0:1], v[0:1], 4, v[8:9]
	s_waitcnt lgkmcnt(0)
	global_store_dwordx4 v[0:1], v[4:7], off
	ds_read_b128 v[0:3], v12 offset:1664
	s_nop 0
	v_add_u32_e32 v4, 0x68, v84
	v_mov_b32_e32 v5, v85
	v_lshl_add_u64 v[10:11], v[4:5], 4, v[8:9]
	ds_read_b128 v[4:7], v12 offset:2080
	;; [unrolled: 14-line block ×3, first 2 shown]
	s_waitcnt lgkmcnt(1)
	global_store_dwordx4 v[10:11], v[0:3], off
	ds_read_b128 v[0:3], v12 offset:3328
	v_add_u32_e32 v10, 0xb6, v84
	v_mov_b32_e32 v11, v85
	v_lshl_add_u64 v[10:11], v[10:11], 4, v[8:9]
	v_add_u32_e32 v84, 0xd0, v84
	s_waitcnt lgkmcnt(1)
	global_store_dwordx4 v[10:11], v[4:7], off
	s_nop 1
	v_lshl_add_u64 v[4:5], v[84:85], 4, v[8:9]
	s_waitcnt lgkmcnt(0)
	global_store_dwordx4 v[4:5], v[0:3], off
.LBB0_29:
	s_endpgm
	.section	.rodata,"a",@progbits
	.p2align	6, 0x0
	.amdhsa_kernel fft_rtc_back_len234_factors_13_9_2_wgs_52_tpt_26_dp_op_CI_CI_unitstride_sbrr_C2R_dirReg
		.amdhsa_group_segment_fixed_size 0
		.amdhsa_private_segment_fixed_size 0
		.amdhsa_kernarg_size 104
		.amdhsa_user_sgpr_count 2
		.amdhsa_user_sgpr_dispatch_ptr 0
		.amdhsa_user_sgpr_queue_ptr 0
		.amdhsa_user_sgpr_kernarg_segment_ptr 1
		.amdhsa_user_sgpr_dispatch_id 0
		.amdhsa_user_sgpr_kernarg_preload_length 0
		.amdhsa_user_sgpr_kernarg_preload_offset 0
		.amdhsa_user_sgpr_private_segment_size 0
		.amdhsa_uses_dynamic_stack 0
		.amdhsa_enable_private_segment 0
		.amdhsa_system_sgpr_workgroup_id_x 1
		.amdhsa_system_sgpr_workgroup_id_y 0
		.amdhsa_system_sgpr_workgroup_id_z 0
		.amdhsa_system_sgpr_workgroup_info 0
		.amdhsa_system_vgpr_workitem_id 0
		.amdhsa_next_free_vgpr 182
		.amdhsa_next_free_sgpr 42
		.amdhsa_accum_offset 184
		.amdhsa_reserve_vcc 1
		.amdhsa_float_round_mode_32 0
		.amdhsa_float_round_mode_16_64 0
		.amdhsa_float_denorm_mode_32 3
		.amdhsa_float_denorm_mode_16_64 3
		.amdhsa_dx10_clamp 1
		.amdhsa_ieee_mode 1
		.amdhsa_fp16_overflow 0
		.amdhsa_tg_split 0
		.amdhsa_exception_fp_ieee_invalid_op 0
		.amdhsa_exception_fp_denorm_src 0
		.amdhsa_exception_fp_ieee_div_zero 0
		.amdhsa_exception_fp_ieee_overflow 0
		.amdhsa_exception_fp_ieee_underflow 0
		.amdhsa_exception_fp_ieee_inexact 0
		.amdhsa_exception_int_div_zero 0
	.end_amdhsa_kernel
	.text
.Lfunc_end0:
	.size	fft_rtc_back_len234_factors_13_9_2_wgs_52_tpt_26_dp_op_CI_CI_unitstride_sbrr_C2R_dirReg, .Lfunc_end0-fft_rtc_back_len234_factors_13_9_2_wgs_52_tpt_26_dp_op_CI_CI_unitstride_sbrr_C2R_dirReg
                                        ; -- End function
	.section	.AMDGPU.csdata,"",@progbits
; Kernel info:
; codeLenInByte = 8632
; NumSgprs: 48
; NumVgprs: 182
; NumAgprs: 0
; TotalNumVgprs: 182
; ScratchSize: 0
; MemoryBound: 0
; FloatMode: 240
; IeeeMode: 1
; LDSByteSize: 0 bytes/workgroup (compile time only)
; SGPRBlocks: 5
; VGPRBlocks: 22
; NumSGPRsForWavesPerEU: 48
; NumVGPRsForWavesPerEU: 182
; AccumOffset: 184
; Occupancy: 2
; WaveLimiterHint : 1
; COMPUTE_PGM_RSRC2:SCRATCH_EN: 0
; COMPUTE_PGM_RSRC2:USER_SGPR: 2
; COMPUTE_PGM_RSRC2:TRAP_HANDLER: 0
; COMPUTE_PGM_RSRC2:TGID_X_EN: 1
; COMPUTE_PGM_RSRC2:TGID_Y_EN: 0
; COMPUTE_PGM_RSRC2:TGID_Z_EN: 0
; COMPUTE_PGM_RSRC2:TIDIG_COMP_CNT: 0
; COMPUTE_PGM_RSRC3_GFX90A:ACCUM_OFFSET: 45
; COMPUTE_PGM_RSRC3_GFX90A:TG_SPLIT: 0
	.text
	.p2alignl 6, 3212836864
	.fill 256, 4, 3212836864
	.type	__hip_cuid_23678145490506ad,@object ; @__hip_cuid_23678145490506ad
	.section	.bss,"aw",@nobits
	.globl	__hip_cuid_23678145490506ad
__hip_cuid_23678145490506ad:
	.byte	0                               ; 0x0
	.size	__hip_cuid_23678145490506ad, 1

	.ident	"AMD clang version 19.0.0git (https://github.com/RadeonOpenCompute/llvm-project roc-6.4.0 25133 c7fe45cf4b819c5991fe208aaa96edf142730f1d)"
	.section	".note.GNU-stack","",@progbits
	.addrsig
	.addrsig_sym __hip_cuid_23678145490506ad
	.amdgpu_metadata
---
amdhsa.kernels:
  - .agpr_count:     0
    .args:
      - .actual_access:  read_only
        .address_space:  global
        .offset:         0
        .size:           8
        .value_kind:     global_buffer
      - .offset:         8
        .size:           8
        .value_kind:     by_value
      - .actual_access:  read_only
        .address_space:  global
        .offset:         16
        .size:           8
        .value_kind:     global_buffer
      - .actual_access:  read_only
        .address_space:  global
        .offset:         24
        .size:           8
        .value_kind:     global_buffer
      - .actual_access:  read_only
        .address_space:  global
        .offset:         32
        .size:           8
        .value_kind:     global_buffer
      - .offset:         40
        .size:           8
        .value_kind:     by_value
      - .actual_access:  read_only
        .address_space:  global
        .offset:         48
        .size:           8
        .value_kind:     global_buffer
      - .actual_access:  read_only
        .address_space:  global
        .offset:         56
        .size:           8
        .value_kind:     global_buffer
      - .offset:         64
        .size:           4
        .value_kind:     by_value
      - .actual_access:  read_only
        .address_space:  global
        .offset:         72
        .size:           8
        .value_kind:     global_buffer
      - .actual_access:  read_only
        .address_space:  global
        .offset:         80
        .size:           8
        .value_kind:     global_buffer
      - .actual_access:  read_only
        .address_space:  global
        .offset:         88
        .size:           8
        .value_kind:     global_buffer
      - .actual_access:  write_only
        .address_space:  global
        .offset:         96
        .size:           8
        .value_kind:     global_buffer
    .group_segment_fixed_size: 0
    .kernarg_segment_align: 8
    .kernarg_segment_size: 104
    .language:       OpenCL C
    .language_version:
      - 2
      - 0
    .max_flat_workgroup_size: 52
    .name:           fft_rtc_back_len234_factors_13_9_2_wgs_52_tpt_26_dp_op_CI_CI_unitstride_sbrr_C2R_dirReg
    .private_segment_fixed_size: 0
    .sgpr_count:     48
    .sgpr_spill_count: 0
    .symbol:         fft_rtc_back_len234_factors_13_9_2_wgs_52_tpt_26_dp_op_CI_CI_unitstride_sbrr_C2R_dirReg.kd
    .uniform_work_group_size: 1
    .uses_dynamic_stack: false
    .vgpr_count:     182
    .vgpr_spill_count: 0
    .wavefront_size: 64
amdhsa.target:   amdgcn-amd-amdhsa--gfx950
amdhsa.version:
  - 1
  - 2
...

	.end_amdgpu_metadata
